;; amdgpu-corpus repo=zjin-lcf/HeCBench kind=compiled arch=gfx1100 opt=O3
	.text
	.amdgcn_target "amdgcn-amd-amdhsa--gfx1100"
	.amdhsa_code_object_version 6
	.section	.text._Z7sosfiltIfEviiiiPKT_S2_PS0_,"axG",@progbits,_Z7sosfiltIfEviiiiPKT_S2_PS0_,comdat
	.protected	_Z7sosfiltIfEviiiiPKT_S2_PS0_ ; -- Begin function _Z7sosfiltIfEviiiiPKT_S2_PS0_
	.globl	_Z7sosfiltIfEviiiiPKT_S2_PS0_
	.p2align	8
	.type	_Z7sosfiltIfEviiiiPKT_S2_PS0_,@function
_Z7sosfiltIfEviiiiPKT_S2_PS0_:          ; @_Z7sosfiltIfEviiiiPKT_S2_PS0_
; %bb.0:
	s_clause 0x1
	s_load_b128 s[4:7], s[0:1], 0x0
	s_load_b64 s[2:3], s[0:1], 0x10
	v_lshl_add_u32 v3, v0, 2, 0
	v_mov_b32_e32 v2, 0
	ds_store_b32 v3, v2
	s_waitcnt lgkmcnt(0)
	v_mul_lo_u32 v1, v0, s7
	s_lshl_b32 s8, s6, 2
	s_delay_alu instid0(SALU_CYCLE_1) | instskip(SKIP_1) | instid1(VALU_DEP_1)
	s_add_i32 s8, s8, 0
	s_cmp_lt_i32 s7, 1
	v_lshl_add_u32 v4, v1, 2, s8
	s_cbranch_scc1 .LBB0_3
; %bb.1:
	v_mad_u64_u32 v[1:2], null, s15, s6, v[0:1]
	s_load_b64 s[10:11], s[0:1], 0x18
	s_delay_alu instid0(VALU_DEP_2) | instskip(SKIP_1) | instid1(VALU_DEP_2)
	v_mov_b32_e32 v5, v4
	s_mov_b32 s9, s7
	v_mul_lo_u32 v1, v1, s7
	s_delay_alu instid0(VALU_DEP_1) | instskip(NEXT) | instid1(VALU_DEP_1)
	v_ashrrev_i32_e32 v2, 31, v1
	v_lshlrev_b64 v[1:2], 2, v[1:2]
	s_waitcnt lgkmcnt(0)
	s_delay_alu instid0(VALU_DEP_1) | instskip(NEXT) | instid1(VALU_DEP_2)
	v_add_co_u32 v1, vcc_lo, s10, v1
	v_add_co_ci_u32_e32 v2, vcc_lo, s11, v2, vcc_lo
.LBB0_2:                                ; =>This Inner Loop Header: Depth=1
	global_load_b32 v6, v[1:2], off
	v_add_co_u32 v1, vcc_lo, v1, 4
	v_add_co_ci_u32_e32 v2, vcc_lo, 0, v2, vcc_lo
	s_add_i32 s9, s9, -1
	s_delay_alu instid0(SALU_CYCLE_1)
	s_cmp_eq_u32 s9, 0
	s_waitcnt vmcnt(0)
	ds_store_b32 v5, v6
	v_add_nc_u32_e32 v5, 4, v5
	s_cbranch_scc0 .LBB0_2
.LBB0_3:
	v_mul_u32_u24_e32 v1, 6, v0
	s_delay_alu instid0(VALU_DEP_1) | instskip(SKIP_4) | instid1(SALU_CYCLE_1)
	v_lshlrev_b32_e32 v1, 2, v1
	s_clause 0x1
	global_load_b128 v[5:8], v1, s[2:3]
	global_load_b64 v[9:10], v1, s[2:3] offset:16
	s_mul_i32 s2, s7, s6
	s_lshl_b32 s2, s2, 2
	s_cmp_lt_i32 s15, s4
	v_add3_u32 v1, s8, s2, v1
	s_waitcnt vmcnt(1)
	ds_store_2addr_b32 v1, v5, v6 offset1:1
	ds_store_2addr_b32 v1, v7, v8 offset0:2 offset1:3
	s_waitcnt vmcnt(0)
	ds_store_2addr_b32 v1, v9, v10 offset0:4 offset1:5
	s_waitcnt lgkmcnt(0)
	s_barrier
	buffer_gl0_inv
	s_cbranch_scc0 .LBB0_22
; %bb.4:
	s_load_b64 s[2:3], s[0:1], 0x20
	v_add_nc_u32_e32 v2, -4, v3
	s_add_i32 s4, s6, -1
	s_cmp_lt_i32 s6, 2
	s_cbranch_scc1 .LBB0_7
; %bb.5:
	s_mov_b64 s[0:1], src_shared_base
	v_cmp_eq_u32_e32 vcc_lo, 0, v0
	v_mov_b32_e32 v5, s1
	s_mul_i32 s0, s15, s5
	s_mov_b32 s7, s4
	s_set_inst_prefetch_distance 0x1
	.p2align	6
.LBB0_6:                                ; =>This Inner Loop Header: Depth=1
	s_ashr_i32 s1, s0, 31
	s_delay_alu instid0(SALU_CYCLE_1)
	s_lshl_b64 s[8:9], s[0:1], 2
	s_waitcnt lgkmcnt(0)
	s_add_u32 s1, s2, s8
	s_addc_u32 s8, s3, s9
	v_cndmask_b32_e64 v6, v2, s1, vcc_lo
	v_cndmask_b32_e64 v7, v5, s8, vcc_lo
	s_add_i32 s7, s7, -1
	s_add_i32 s0, s0, 1
	s_cmp_eq_u32 s7, 0
	flat_load_b32 v10, v[6:7]
	ds_load_2addr_b32 v[6:7], v4 offset1:1
	ds_load_2addr_b32 v[8:9], v1 offset1:1
	ds_load_b32 v11, v1 offset:16
	s_waitcnt vmcnt(0) lgkmcnt(1)
	v_fma_f32 v6, v10, v8, v6
	s_waitcnt lgkmcnt(0)
	s_delay_alu instid0(VALU_DEP_1) | instskip(NEXT) | instid1(VALU_DEP_1)
	v_mul_f32_e32 v8, v6, v11
	v_fma_f32 v8, v10, v9, -v8
	s_delay_alu instid0(VALU_DEP_1)
	v_add_f32_e32 v7, v7, v8
	ds_store_b32 v4, v7
	ds_load_b32 v7, v1 offset:20
	ds_load_b32 v8, v1 offset:8
	s_waitcnt lgkmcnt(1)
	v_mul_f32_e32 v7, v6, v7
	s_waitcnt lgkmcnt(0)
	s_delay_alu instid0(VALU_DEP_1)
	v_fma_f32 v7, v10, v8, -v7
	ds_store_b32 v4, v7 offset:4
	ds_store_b32 v3, v6
	s_waitcnt lgkmcnt(0)
	s_barrier
	buffer_gl0_inv
	s_cbranch_scc0 .LBB0_6
.LBB0_7:
	s_set_inst_prefetch_distance 0x2
	v_cmp_le_i32_e32 vcc_lo, s4, v0
	s_cmp_gt_i32 s6, s5
	s_cbranch_scc1 .LBB0_14
; %bb.8:
	s_mov_b64 s[0:1], src_shared_base
	v_cmp_eq_u32_e64 s0, 0, v0
	v_dual_mov_b32 v5, s1 :: v_dual_mov_b32 v6, 0
	s_mul_i32 s1, s15, s5
	s_mov_b32 s7, 0
	s_add_i32 s8, s1, s4
	s_branch .LBB0_10
.LBB0_9:                                ;   in Loop: Header=BB0_10 Depth=1
	s_or_b32 exec_lo, exec_lo, s9
	s_add_i32 s7, s7, 1
	s_waitcnt lgkmcnt(0)
	s_waitcnt_vscnt null, 0x0
	s_add_i32 s9, s4, s7
	s_barrier
	s_cmp_ge_i32 s9, s5
	buffer_gl0_inv
	s_cbranch_scc1 .LBB0_14
.LBB0_10:                               ; =>This Inner Loop Header: Depth=1
	s_add_i32 s10, s8, s7
	s_delay_alu instid0(SALU_CYCLE_1) | instskip(NEXT) | instid1(SALU_CYCLE_1)
	s_ashr_i32 s11, s10, 31
	s_lshl_b64 s[10:11], s[10:11], 2
	s_waitcnt lgkmcnt(0)
	s_add_u32 s9, s2, s10
	s_addc_u32 s10, s3, s11
	v_cndmask_b32_e64 v7, v2, s9, s0
	v_cndmask_b32_e64 v8, v5, s10, s0
	flat_load_b32 v11, v[7:8]
	ds_load_2addr_b32 v[7:8], v4 offset1:1
	ds_load_2addr_b32 v[9:10], v1 offset1:1
	ds_load_b32 v12, v1 offset:16
	s_waitcnt vmcnt(0) lgkmcnt(1)
	v_fma_f32 v7, v11, v9, v7
	s_waitcnt lgkmcnt(0)
	s_delay_alu instid0(VALU_DEP_1) | instskip(NEXT) | instid1(VALU_DEP_1)
	v_mul_f32_e32 v9, v7, v12
	v_fma_f32 v9, v11, v10, -v9
	s_delay_alu instid0(VALU_DEP_1)
	v_add_f32_e32 v8, v8, v9
	ds_store_b32 v4, v8
	ds_load_b32 v8, v1 offset:20
	ds_load_b32 v9, v1 offset:8
	s_waitcnt lgkmcnt(1)
	v_mul_f32_e32 v8, v7, v8
	s_waitcnt lgkmcnt(0)
	s_delay_alu instid0(VALU_DEP_1) | instskip(SKIP_2) | instid1(SALU_CYCLE_1)
	v_fma_f32 v8, v11, v9, -v8
	ds_store_b32 v4, v8 offset:4
	s_and_saveexec_b32 s9, vcc_lo
	s_xor_b32 s9, exec_lo, s9
	s_cbranch_execz .LBB0_12
; %bb.11:                               ;   in Loop: Header=BB0_10 Depth=1
	s_add_i32 s10, s1, s7
	s_delay_alu instid0(SALU_CYCLE_1) | instskip(NEXT) | instid1(SALU_CYCLE_1)
	s_ashr_i32 s11, s10, 31
	s_lshl_b64 s[10:11], s[10:11], 2
	s_delay_alu instid0(SALU_CYCLE_1)
	s_add_u32 s10, s2, s10
	s_addc_u32 s11, s3, s11
	global_store_b32 v6, v7, s[10:11]
                                        ; implicit-def: $vgpr7
.LBB0_12:                               ;   in Loop: Header=BB0_10 Depth=1
	s_and_not1_saveexec_b32 s9, s9
	s_cbranch_execz .LBB0_9
; %bb.13:                               ;   in Loop: Header=BB0_10 Depth=1
	ds_store_b32 v3, v7
	s_branch .LBB0_9
.LBB0_14:
	s_cmp_lt_i32 s6, 1
	s_cbranch_scc1 .LBB0_22
; %bb.15:
	s_add_i32 s0, s15, 1
	v_cmp_le_i32_e32 vcc_lo, s4, v0
	s_mul_i32 s0, s0, s5
	v_mov_b32_e32 v5, 0
	s_sub_i32 s1, s0, s6
	s_mov_b32 s4, 0
	s_add_i32 s1, s1, 1
	s_branch .LBB0_17
.LBB0_16:                               ;   in Loop: Header=BB0_17 Depth=1
	s_or_b32 exec_lo, exec_lo, s5
	s_add_i32 s4, s4, 1
	s_waitcnt lgkmcnt(0)
	s_waitcnt_vscnt null, 0x0
	s_cmp_lg_u32 s6, s4
	s_barrier
	buffer_gl0_inv
	s_cbranch_scc0 .LBB0_22
.LBB0_17:                               ; =>This Inner Loop Header: Depth=1
	s_mov_b32 s5, exec_lo
	v_cmpx_lt_u32_e64 s4, v0
	s_cbranch_execz .LBB0_16
; %bb.18:                               ;   in Loop: Header=BB0_17 Depth=1
	ds_load_2addr_b32 v[6:7], v1 offset1:1
	ds_load_b32 v10, v2
	ds_load_2addr_b32 v[8:9], v4 offset1:1
	ds_load_b32 v11, v1 offset:16
	s_waitcnt lgkmcnt(0)
	v_fma_f32 v6, v10, v6, v8
	s_delay_alu instid0(VALU_DEP_1) | instskip(NEXT) | instid1(VALU_DEP_1)
	v_mul_f32_e32 v8, v6, v11
	v_fma_f32 v7, v10, v7, -v8
	s_delay_alu instid0(VALU_DEP_1)
	v_add_f32_e32 v7, v9, v7
	ds_store_b32 v4, v7
	ds_load_b32 v7, v1 offset:20
	ds_load_b32 v8, v1 offset:8
	s_waitcnt lgkmcnt(1)
	v_mul_f32_e32 v7, v6, v7
	s_waitcnt lgkmcnt(0)
	s_delay_alu instid0(VALU_DEP_1) | instskip(SKIP_2) | instid1(SALU_CYCLE_1)
	v_fma_f32 v7, v10, v8, -v7
	ds_store_b32 v4, v7 offset:4
	s_and_saveexec_b32 s0, vcc_lo
	s_xor_b32 s0, exec_lo, s0
	s_cbranch_execz .LBB0_20
; %bb.19:                               ;   in Loop: Header=BB0_17 Depth=1
	s_add_i32 s8, s1, s4
	s_delay_alu instid0(SALU_CYCLE_1) | instskip(NEXT) | instid1(SALU_CYCLE_1)
	s_ashr_i32 s9, s8, 31
	s_lshl_b64 s[8:9], s[8:9], 2
	s_delay_alu instid0(SALU_CYCLE_1)
	s_add_u32 s8, s2, s8
	s_addc_u32 s9, s3, s9
	global_store_b32 v5, v6, s[8:9]
                                        ; implicit-def: $vgpr6
.LBB0_20:                               ;   in Loop: Header=BB0_17 Depth=1
	s_and_not1_saveexec_b32 s0, s0
	s_cbranch_execz .LBB0_16
; %bb.21:                               ;   in Loop: Header=BB0_17 Depth=1
	ds_store_b32 v3, v6
	s_branch .LBB0_16
.LBB0_22:
	s_endpgm
	.section	.rodata,"a",@progbits
	.p2align	6, 0x0
	.amdhsa_kernel _Z7sosfiltIfEviiiiPKT_S2_PS0_
		.amdhsa_group_segment_fixed_size 0
		.amdhsa_private_segment_fixed_size 0
		.amdhsa_kernarg_size 40
		.amdhsa_user_sgpr_count 15
		.amdhsa_user_sgpr_dispatch_ptr 0
		.amdhsa_user_sgpr_queue_ptr 0
		.amdhsa_user_sgpr_kernarg_segment_ptr 1
		.amdhsa_user_sgpr_dispatch_id 0
		.amdhsa_user_sgpr_private_segment_size 0
		.amdhsa_wavefront_size32 1
		.amdhsa_uses_dynamic_stack 0
		.amdhsa_enable_private_segment 0
		.amdhsa_system_sgpr_workgroup_id_x 1
		.amdhsa_system_sgpr_workgroup_id_y 0
		.amdhsa_system_sgpr_workgroup_id_z 0
		.amdhsa_system_sgpr_workgroup_info 0
		.amdhsa_system_vgpr_workitem_id 0
		.amdhsa_next_free_vgpr 13
		.amdhsa_next_free_sgpr 16
		.amdhsa_reserve_vcc 1
		.amdhsa_float_round_mode_32 0
		.amdhsa_float_round_mode_16_64 0
		.amdhsa_float_denorm_mode_32 3
		.amdhsa_float_denorm_mode_16_64 3
		.amdhsa_dx10_clamp 1
		.amdhsa_ieee_mode 1
		.amdhsa_fp16_overflow 0
		.amdhsa_workgroup_processor_mode 1
		.amdhsa_memory_ordered 1
		.amdhsa_forward_progress 0
		.amdhsa_shared_vgpr_count 0
		.amdhsa_exception_fp_ieee_invalid_op 0
		.amdhsa_exception_fp_denorm_src 0
		.amdhsa_exception_fp_ieee_div_zero 0
		.amdhsa_exception_fp_ieee_overflow 0
		.amdhsa_exception_fp_ieee_underflow 0
		.amdhsa_exception_fp_ieee_inexact 0
		.amdhsa_exception_int_div_zero 0
	.end_amdhsa_kernel
	.section	.text._Z7sosfiltIfEviiiiPKT_S2_PS0_,"axG",@progbits,_Z7sosfiltIfEviiiiPKT_S2_PS0_,comdat
.Lfunc_end0:
	.size	_Z7sosfiltIfEviiiiPKT_S2_PS0_, .Lfunc_end0-_Z7sosfiltIfEviiiiPKT_S2_PS0_
                                        ; -- End function
	.section	.AMDGPU.csdata,"",@progbits
; Kernel info:
; codeLenInByte = 1184
; NumSgprs: 18
; NumVgprs: 13
; ScratchSize: 0
; MemoryBound: 0
; FloatMode: 240
; IeeeMode: 1
; LDSByteSize: 0 bytes/workgroup (compile time only)
; SGPRBlocks: 2
; VGPRBlocks: 1
; NumSGPRsForWavesPerEU: 18
; NumVGPRsForWavesPerEU: 13
; Occupancy: 16
; WaveLimiterHint : 0
; COMPUTE_PGM_RSRC2:SCRATCH_EN: 0
; COMPUTE_PGM_RSRC2:USER_SGPR: 15
; COMPUTE_PGM_RSRC2:TRAP_HANDLER: 0
; COMPUTE_PGM_RSRC2:TGID_X_EN: 1
; COMPUTE_PGM_RSRC2:TGID_Y_EN: 0
; COMPUTE_PGM_RSRC2:TGID_Z_EN: 0
; COMPUTE_PGM_RSRC2:TIDIG_COMP_CNT: 0
	.section	.text._Z7sosfiltIdEviiiiPKT_S2_PS0_,"axG",@progbits,_Z7sosfiltIdEviiiiPKT_S2_PS0_,comdat
	.protected	_Z7sosfiltIdEviiiiPKT_S2_PS0_ ; -- Begin function _Z7sosfiltIdEviiiiPKT_S2_PS0_
	.globl	_Z7sosfiltIdEviiiiPKT_S2_PS0_
	.p2align	8
	.type	_Z7sosfiltIdEviiiiPKT_S2_PS0_,@function
_Z7sosfiltIdEviiiiPKT_S2_PS0_:          ; @_Z7sosfiltIdEviiiiPKT_S2_PS0_
; %bb.0:
	s_clause 0x1
	s_load_b128 s[4:7], s[0:1], 0x0
	s_load_b64 s[2:3], s[0:1], 0x10
	v_mov_b32_e32 v1, 0
	v_lshl_add_u32 v3, v0, 3, 0
	s_delay_alu instid0(VALU_DEP_2) | instskip(SKIP_4) | instid1(SALU_CYCLE_1)
	v_mov_b32_e32 v2, v1
	ds_store_b64 v3, v[1:2]
	s_waitcnt lgkmcnt(0)
	v_mul_lo_u32 v4, v0, s7
	s_lshl_b32 s8, s6, 3
	s_add_i32 s8, s8, 0
	s_cmp_lt_i32 s7, 1
	s_delay_alu instid0(VALU_DEP_1)
	v_lshl_add_u32 v4, v4, 3, s8
	s_cbranch_scc1 .LBB1_3
; %bb.1:
	v_mad_u64_u32 v[1:2], null, s15, s6, v[0:1]
	s_load_b64 s[10:11], s[0:1], 0x18
	s_delay_alu instid0(VALU_DEP_2) | instskip(SKIP_1) | instid1(VALU_DEP_2)
	v_mov_b32_e32 v5, v4
	s_mov_b32 s9, s7
	v_mul_lo_u32 v1, v1, s7
	s_delay_alu instid0(VALU_DEP_1) | instskip(NEXT) | instid1(VALU_DEP_1)
	v_ashrrev_i32_e32 v2, 31, v1
	v_lshlrev_b64 v[1:2], 3, v[1:2]
	s_waitcnt lgkmcnt(0)
	s_delay_alu instid0(VALU_DEP_1) | instskip(NEXT) | instid1(VALU_DEP_2)
	v_add_co_u32 v1, vcc_lo, s10, v1
	v_add_co_ci_u32_e32 v2, vcc_lo, s11, v2, vcc_lo
.LBB1_2:                                ; =>This Inner Loop Header: Depth=1
	global_load_b64 v[6:7], v[1:2], off
	v_add_co_u32 v1, vcc_lo, v1, 8
	v_add_co_ci_u32_e32 v2, vcc_lo, 0, v2, vcc_lo
	s_add_i32 s9, s9, -1
	s_delay_alu instid0(SALU_CYCLE_1)
	s_cmp_eq_u32 s9, 0
	s_waitcnt vmcnt(0)
	ds_store_b64 v5, v[6:7]
	v_add_nc_u32_e32 v5, 8, v5
	s_cbranch_scc0 .LBB1_2
.LBB1_3:
	v_mul_u32_u24_e32 v1, 6, v0
	s_delay_alu instid0(VALU_DEP_1)
	v_lshlrev_b32_e32 v1, 3, v1
	s_clause 0x2
	global_load_b128 v[6:9], v1, s[2:3]
	global_load_b128 v[10:13], v1, s[2:3] offset:16
	global_load_b128 v[14:17], v1, s[2:3] offset:32
	s_mul_i32 s2, s7, s6
	s_delay_alu instid0(SALU_CYCLE_1)
	s_lshl_b32 s2, s2, 3
	s_cmp_lt_i32 s15, s4
	v_add3_u32 v5, s8, s2, v1
	s_waitcnt vmcnt(2)
	ds_store_2addr_b64 v5, v[6:7], v[8:9] offset1:1
	s_waitcnt vmcnt(1)
	ds_store_2addr_b64 v5, v[10:11], v[12:13] offset0:2 offset1:3
	s_waitcnt vmcnt(0)
	ds_store_2addr_b64 v5, v[14:15], v[16:17] offset0:4 offset1:5
	s_waitcnt lgkmcnt(0)
	s_barrier
	buffer_gl0_inv
	s_cbranch_scc0 .LBB1_22
; %bb.4:
	s_load_b64 s[2:3], s[0:1], 0x20
	v_add_nc_u32_e32 v6, -8, v3
	s_add_i32 s4, s6, -1
	s_cmp_lt_i32 s6, 2
	s_cbranch_scc1 .LBB1_7
; %bb.5:
	s_mov_b64 s[0:1], src_shared_base
	v_cmp_eq_u32_e32 vcc_lo, 0, v0
	v_mov_b32_e32 v1, s1
	s_mul_i32 s0, s15, s5
	s_mov_b32 s7, s4
	s_set_inst_prefetch_distance 0x1
	.p2align	6
.LBB1_6:                                ; =>This Inner Loop Header: Depth=1
	s_ashr_i32 s1, s0, 31
	s_delay_alu instid0(SALU_CYCLE_1)
	s_lshl_b64 s[8:9], s[0:1], 3
	s_waitcnt lgkmcnt(0)
	s_add_u32 s1, s2, s8
	s_addc_u32 s8, s3, s9
	v_cndmask_b32_e64 v7, v6, s1, vcc_lo
	v_cndmask_b32_e64 v8, v1, s8, vcc_lo
	s_add_i32 s7, s7, -1
	s_add_i32 s0, s0, 1
	s_cmp_eq_u32 s7, 0
	flat_load_b64 v[15:16], v[7:8]
	ds_load_2addr_b64 v[7:10], v4 offset1:1
	ds_load_2addr_b64 v[11:14], v5 offset1:1
	ds_load_b64 v[17:18], v5 offset:32
	s_waitcnt vmcnt(0) lgkmcnt(1)
	v_fma_f64 v[7:8], v[15:16], v[11:12], v[7:8]
	s_waitcnt lgkmcnt(0)
	s_delay_alu instid0(VALU_DEP_1) | instskip(NEXT) | instid1(VALU_DEP_1)
	v_mul_f64 v[11:12], v[7:8], v[17:18]
	v_fma_f64 v[11:12], v[15:16], v[13:14], -v[11:12]
	s_delay_alu instid0(VALU_DEP_1)
	v_add_f64 v[9:10], v[9:10], v[11:12]
	ds_store_b64 v4, v[9:10]
	ds_load_b64 v[9:10], v5 offset:40
	ds_load_b64 v[11:12], v5 offset:16
	s_waitcnt lgkmcnt(1)
	v_mul_f64 v[9:10], v[7:8], v[9:10]
	s_waitcnt lgkmcnt(0)
	s_delay_alu instid0(VALU_DEP_1)
	v_fma_f64 v[9:10], v[15:16], v[11:12], -v[9:10]
	ds_store_b64 v4, v[9:10] offset:8
	ds_store_b64 v3, v[7:8]
	s_waitcnt lgkmcnt(0)
	s_barrier
	buffer_gl0_inv
	s_cbranch_scc0 .LBB1_6
.LBB1_7:
	s_set_inst_prefetch_distance 0x2
	v_cmp_le_i32_e32 vcc_lo, s4, v0
	s_cmp_gt_i32 s6, s5
	s_cbranch_scc1 .LBB1_14
; %bb.8:
	s_mov_b64 s[0:1], src_shared_base
	v_cmp_eq_u32_e64 s0, 0, v0
	v_dual_mov_b32 v7, s1 :: v_dual_mov_b32 v8, 0
	s_mul_i32 s1, s15, s5
	s_mov_b32 s7, 0
	s_add_i32 s8, s1, s4
	s_branch .LBB1_10
.LBB1_9:                                ;   in Loop: Header=BB1_10 Depth=1
	s_or_b32 exec_lo, exec_lo, s9
	s_add_i32 s7, s7, 1
	s_waitcnt lgkmcnt(0)
	s_waitcnt_vscnt null, 0x0
	s_add_i32 s9, s4, s7
	s_barrier
	s_cmp_ge_i32 s9, s5
	buffer_gl0_inv
	s_cbranch_scc1 .LBB1_14
.LBB1_10:                               ; =>This Inner Loop Header: Depth=1
	s_add_i32 s10, s8, s7
	s_delay_alu instid0(SALU_CYCLE_1) | instskip(NEXT) | instid1(SALU_CYCLE_1)
	s_ashr_i32 s11, s10, 31
	s_lshl_b64 s[10:11], s[10:11], 3
	s_waitcnt lgkmcnt(0)
	s_add_u32 s9, s2, s10
	s_addc_u32 s10, s3, s11
	v_cndmask_b32_e64 v1, v6, s9, s0
	v_cndmask_b32_e64 v2, v7, s10, s0
	flat_load_b64 v[17:18], v[1:2]
	ds_load_2addr_b64 v[9:12], v4 offset1:1
	ds_load_2addr_b64 v[13:16], v5 offset1:1
	ds_load_b64 v[19:20], v5 offset:32
	s_waitcnt vmcnt(0) lgkmcnt(1)
	v_fma_f64 v[1:2], v[17:18], v[13:14], v[9:10]
	s_waitcnt lgkmcnt(0)
	s_delay_alu instid0(VALU_DEP_1) | instskip(NEXT) | instid1(VALU_DEP_1)
	v_mul_f64 v[9:10], v[1:2], v[19:20]
	v_fma_f64 v[9:10], v[17:18], v[15:16], -v[9:10]
	s_delay_alu instid0(VALU_DEP_1)
	v_add_f64 v[9:10], v[11:12], v[9:10]
	ds_store_b64 v4, v[9:10]
	ds_load_b64 v[9:10], v5 offset:40
	ds_load_b64 v[11:12], v5 offset:16
	s_waitcnt lgkmcnt(1)
	v_mul_f64 v[9:10], v[1:2], v[9:10]
	s_waitcnt lgkmcnt(0)
	s_delay_alu instid0(VALU_DEP_1) | instskip(SKIP_2) | instid1(SALU_CYCLE_1)
	v_fma_f64 v[9:10], v[17:18], v[11:12], -v[9:10]
	ds_store_b64 v4, v[9:10] offset:8
	s_and_saveexec_b32 s9, vcc_lo
	s_xor_b32 s9, exec_lo, s9
	s_cbranch_execz .LBB1_12
; %bb.11:                               ;   in Loop: Header=BB1_10 Depth=1
	s_add_i32 s10, s1, s7
	s_delay_alu instid0(SALU_CYCLE_1) | instskip(NEXT) | instid1(SALU_CYCLE_1)
	s_ashr_i32 s11, s10, 31
	s_lshl_b64 s[10:11], s[10:11], 3
	s_delay_alu instid0(SALU_CYCLE_1)
	s_add_u32 s10, s2, s10
	s_addc_u32 s11, s3, s11
	global_store_b64 v8, v[1:2], s[10:11]
                                        ; implicit-def: $vgpr1_vgpr2
.LBB1_12:                               ;   in Loop: Header=BB1_10 Depth=1
	s_and_not1_saveexec_b32 s9, s9
	s_cbranch_execz .LBB1_9
; %bb.13:                               ;   in Loop: Header=BB1_10 Depth=1
	ds_store_b64 v3, v[1:2]
	s_branch .LBB1_9
.LBB1_14:
	s_cmp_lt_i32 s6, 1
	s_cbranch_scc1 .LBB1_22
; %bb.15:
	s_add_i32 s0, s15, 1
	v_cmp_le_i32_e32 vcc_lo, s4, v0
	s_mul_i32 s0, s0, s5
	v_mov_b32_e32 v7, 0
	s_sub_i32 s1, s0, s6
	s_mov_b32 s4, 0
	s_add_i32 s1, s1, 1
	s_branch .LBB1_17
.LBB1_16:                               ;   in Loop: Header=BB1_17 Depth=1
	s_or_b32 exec_lo, exec_lo, s5
	s_add_i32 s4, s4, 1
	s_waitcnt lgkmcnt(0)
	s_waitcnt_vscnt null, 0x0
	s_cmp_lg_u32 s6, s4
	s_barrier
	buffer_gl0_inv
	s_cbranch_scc0 .LBB1_22
.LBB1_17:                               ; =>This Inner Loop Header: Depth=1
	s_mov_b32 s5, exec_lo
	v_cmpx_lt_u32_e64 s4, v0
	s_cbranch_execz .LBB1_16
; %bb.18:                               ;   in Loop: Header=BB1_17 Depth=1
	ds_load_b64 v[16:17], v6
	ds_load_2addr_b64 v[8:11], v4 offset1:1
	ds_load_2addr_b64 v[12:15], v5 offset1:1
	ds_load_b64 v[18:19], v5 offset:32
	s_waitcnt lgkmcnt(0)
	v_fma_f64 v[1:2], v[16:17], v[12:13], v[8:9]
	s_delay_alu instid0(VALU_DEP_1) | instskip(NEXT) | instid1(VALU_DEP_1)
	v_mul_f64 v[8:9], v[1:2], v[18:19]
	v_fma_f64 v[8:9], v[16:17], v[14:15], -v[8:9]
	s_delay_alu instid0(VALU_DEP_1)
	v_add_f64 v[8:9], v[10:11], v[8:9]
	ds_store_b64 v4, v[8:9]
	ds_load_b64 v[8:9], v5 offset:40
	ds_load_b64 v[10:11], v5 offset:16
	s_waitcnt lgkmcnt(1)
	v_mul_f64 v[8:9], v[1:2], v[8:9]
	s_waitcnt lgkmcnt(0)
	s_delay_alu instid0(VALU_DEP_1) | instskip(SKIP_2) | instid1(SALU_CYCLE_1)
	v_fma_f64 v[8:9], v[16:17], v[10:11], -v[8:9]
	ds_store_b64 v4, v[8:9] offset:8
	s_and_saveexec_b32 s0, vcc_lo
	s_xor_b32 s0, exec_lo, s0
	s_cbranch_execz .LBB1_20
; %bb.19:                               ;   in Loop: Header=BB1_17 Depth=1
	s_add_i32 s8, s1, s4
	s_delay_alu instid0(SALU_CYCLE_1) | instskip(NEXT) | instid1(SALU_CYCLE_1)
	s_ashr_i32 s9, s8, 31
	s_lshl_b64 s[8:9], s[8:9], 3
	s_delay_alu instid0(SALU_CYCLE_1)
	s_add_u32 s8, s2, s8
	s_addc_u32 s9, s3, s9
	global_store_b64 v7, v[1:2], s[8:9]
                                        ; implicit-def: $vgpr1_vgpr2
.LBB1_20:                               ;   in Loop: Header=BB1_17 Depth=1
	s_and_not1_saveexec_b32 s0, s0
	s_cbranch_execz .LBB1_16
; %bb.21:                               ;   in Loop: Header=BB1_17 Depth=1
	ds_store_b64 v3, v[1:2]
	s_branch .LBB1_16
.LBB1_22:
	s_endpgm
	.section	.rodata,"a",@progbits
	.p2align	6, 0x0
	.amdhsa_kernel _Z7sosfiltIdEviiiiPKT_S2_PS0_
		.amdhsa_group_segment_fixed_size 0
		.amdhsa_private_segment_fixed_size 0
		.amdhsa_kernarg_size 40
		.amdhsa_user_sgpr_count 15
		.amdhsa_user_sgpr_dispatch_ptr 0
		.amdhsa_user_sgpr_queue_ptr 0
		.amdhsa_user_sgpr_kernarg_segment_ptr 1
		.amdhsa_user_sgpr_dispatch_id 0
		.amdhsa_user_sgpr_private_segment_size 0
		.amdhsa_wavefront_size32 1
		.amdhsa_uses_dynamic_stack 0
		.amdhsa_enable_private_segment 0
		.amdhsa_system_sgpr_workgroup_id_x 1
		.amdhsa_system_sgpr_workgroup_id_y 0
		.amdhsa_system_sgpr_workgroup_id_z 0
		.amdhsa_system_sgpr_workgroup_info 0
		.amdhsa_system_vgpr_workitem_id 0
		.amdhsa_next_free_vgpr 21
		.amdhsa_next_free_sgpr 16
		.amdhsa_reserve_vcc 1
		.amdhsa_float_round_mode_32 0
		.amdhsa_float_round_mode_16_64 0
		.amdhsa_float_denorm_mode_32 3
		.amdhsa_float_denorm_mode_16_64 3
		.amdhsa_dx10_clamp 1
		.amdhsa_ieee_mode 1
		.amdhsa_fp16_overflow 0
		.amdhsa_workgroup_processor_mode 1
		.amdhsa_memory_ordered 1
		.amdhsa_forward_progress 0
		.amdhsa_shared_vgpr_count 0
		.amdhsa_exception_fp_ieee_invalid_op 0
		.amdhsa_exception_fp_denorm_src 0
		.amdhsa_exception_fp_ieee_div_zero 0
		.amdhsa_exception_fp_ieee_overflow 0
		.amdhsa_exception_fp_ieee_underflow 0
		.amdhsa_exception_fp_ieee_inexact 0
		.amdhsa_exception_int_div_zero 0
	.end_amdhsa_kernel
	.section	.text._Z7sosfiltIdEviiiiPKT_S2_PS0_,"axG",@progbits,_Z7sosfiltIdEviiiiPKT_S2_PS0_,comdat
.Lfunc_end1:
	.size	_Z7sosfiltIdEviiiiPKT_S2_PS0_, .Lfunc_end1-_Z7sosfiltIdEviiiiPKT_S2_PS0_
                                        ; -- End function
	.section	.AMDGPU.csdata,"",@progbits
; Kernel info:
; codeLenInByte = 1244
; NumSgprs: 18
; NumVgprs: 21
; ScratchSize: 0
; MemoryBound: 0
; FloatMode: 240
; IeeeMode: 1
; LDSByteSize: 0 bytes/workgroup (compile time only)
; SGPRBlocks: 2
; VGPRBlocks: 2
; NumSGPRsForWavesPerEU: 18
; NumVGPRsForWavesPerEU: 21
; Occupancy: 16
; WaveLimiterHint : 0
; COMPUTE_PGM_RSRC2:SCRATCH_EN: 0
; COMPUTE_PGM_RSRC2:USER_SGPR: 15
; COMPUTE_PGM_RSRC2:TRAP_HANDLER: 0
; COMPUTE_PGM_RSRC2:TGID_X_EN: 1
; COMPUTE_PGM_RSRC2:TGID_Y_EN: 0
; COMPUTE_PGM_RSRC2:TGID_Z_EN: 0
; COMPUTE_PGM_RSRC2:TIDIG_COMP_CNT: 0
	.text
	.p2alignl 7, 3214868480
	.fill 96, 4, 3214868480
	.type	__hip_cuid_72d41f814a16bcda,@object ; @__hip_cuid_72d41f814a16bcda
	.section	.bss,"aw",@nobits
	.globl	__hip_cuid_72d41f814a16bcda
__hip_cuid_72d41f814a16bcda:
	.byte	0                               ; 0x0
	.size	__hip_cuid_72d41f814a16bcda, 1

	.ident	"AMD clang version 19.0.0git (https://github.com/RadeonOpenCompute/llvm-project roc-6.4.0 25133 c7fe45cf4b819c5991fe208aaa96edf142730f1d)"
	.section	".note.GNU-stack","",@progbits
	.addrsig
	.addrsig_sym __hip_cuid_72d41f814a16bcda
	.amdgpu_metadata
---
amdhsa.kernels:
  - .args:
      - .offset:         0
        .size:           4
        .value_kind:     by_value
      - .offset:         4
        .size:           4
        .value_kind:     by_value
      - .offset:         8
        .size:           4
        .value_kind:     by_value
      - .offset:         12
        .size:           4
        .value_kind:     by_value
      - .actual_access:  read_only
        .address_space:  global
        .offset:         16
        .size:           8
        .value_kind:     global_buffer
      - .actual_access:  read_only
        .address_space:  global
        .offset:         24
        .size:           8
        .value_kind:     global_buffer
      - .address_space:  global
        .offset:         32
        .size:           8
        .value_kind:     global_buffer
    .group_segment_fixed_size: 0
    .kernarg_segment_align: 8
    .kernarg_segment_size: 40
    .language:       OpenCL C
    .language_version:
      - 2
      - 0
    .max_flat_workgroup_size: 1024
    .name:           _Z7sosfiltIfEviiiiPKT_S2_PS0_
    .private_segment_fixed_size: 0
    .sgpr_count:     18
    .sgpr_spill_count: 0
    .symbol:         _Z7sosfiltIfEviiiiPKT_S2_PS0_.kd
    .uniform_work_group_size: 1
    .uses_dynamic_stack: false
    .vgpr_count:     13
    .vgpr_spill_count: 0
    .wavefront_size: 32
    .workgroup_processor_mode: 1
  - .args:
      - .offset:         0
        .size:           4
        .value_kind:     by_value
      - .offset:         4
        .size:           4
        .value_kind:     by_value
      - .offset:         8
        .size:           4
        .value_kind:     by_value
      - .offset:         12
        .size:           4
        .value_kind:     by_value
      - .actual_access:  read_only
        .address_space:  global
        .offset:         16
        .size:           8
        .value_kind:     global_buffer
      - .actual_access:  read_only
        .address_space:  global
        .offset:         24
        .size:           8
        .value_kind:     global_buffer
      - .address_space:  global
        .offset:         32
        .size:           8
        .value_kind:     global_buffer
    .group_segment_fixed_size: 0
    .kernarg_segment_align: 8
    .kernarg_segment_size: 40
    .language:       OpenCL C
    .language_version:
      - 2
      - 0
    .max_flat_workgroup_size: 1024
    .name:           _Z7sosfiltIdEviiiiPKT_S2_PS0_
    .private_segment_fixed_size: 0
    .sgpr_count:     18
    .sgpr_spill_count: 0
    .symbol:         _Z7sosfiltIdEviiiiPKT_S2_PS0_.kd
    .uniform_work_group_size: 1
    .uses_dynamic_stack: false
    .vgpr_count:     21
    .vgpr_spill_count: 0
    .wavefront_size: 32
    .workgroup_processor_mode: 1
amdhsa.target:   amdgcn-amd-amdhsa--gfx1100
amdhsa.version:
  - 1
  - 2
...

	.end_amdgpu_metadata
